;; amdgpu-corpus repo=zjin-lcf/HeCBench kind=compiled arch=gfx1250 opt=O3
	.amdgcn_target "amdgcn-amd-amdhsa--gfx1250"
	.amdhsa_code_object_version 6
	.text
	.protected	_Z6affinePKtPt          ; -- Begin function _Z6affinePKtPt
	.globl	_Z6affinePKtPt
	.p2align	8
	.type	_Z6affinePKtPt,@function
_Z6affinePKtPt:                         ; @_Z6affinePKtPt
; %bb.0:
	s_load_b32 s2, s[0:1], 0x1c
	s_bfe_u32 s4, ttmp6, 0x4000c
	s_bfe_u32 s5, ttmp6, 0x40010
	s_add_co_i32 s4, s4, 1
	s_add_co_i32 s5, s5, 1
	s_and_b32 s3, ttmp6, 15
	s_bfe_u32 s6, ttmp6, 0x40004
	s_mul_i32 s4, ttmp9, s4
	s_mul_i32 s5, ttmp7, s5
	s_getreg_b32 s7, hwreg(HW_REG_IB_STS2, 6, 4)
	v_bfe_u32 v1, v0, 10, 10
	v_and_b32_e32 v2, 0x3ff, v0
	s_add_co_i32 s3, s3, s4
	s_add_co_i32 s6, s6, s5
	s_wait_kmcnt 0x0
	s_and_b32 s4, s2, 0xffff
	s_lshr_b32 s2, s2, 16
	s_cmp_eq_u32 s7, 0
	s_cselect_b32 s5, ttmp7, s6
	s_cselect_b32 s3, ttmp9, s3
	v_mad_u32 v0, s5, s2, v1
	v_mad_u32 v1, s3, s4, v2
	s_mov_b32 s2, 0xc3800000
	s_load_b64 s[4:5], s[0:1], 0x0
	s_mov_b32 s6, 0
	s_delay_alu instid0(VALU_DEP_2) | instskip(NEXT) | instid1(VALU_DEP_2)
	v_cvt_f32_i32_e32 v3, v0
	v_cvt_f32_i32_e32 v2, v1
	s_delay_alu instid0(VALU_DEP_1) | instskip(SKIP_1) | instid1(VALU_DEP_1)
	v_pk_add_f32 v[2:3], v[2:3], s[2:3] op_sel_hi:[1,0]
	s_mov_b32 s2, exec_lo
	v_pk_mul_f32 v[4:5], 0x4013cd3a, v[2:3]
	s_delay_alu instid0(VALU_DEP_1) | instskip(NEXT) | instid1(VALU_DEP_1)
	v_dual_mov_b32 v6, 0 :: v_dual_add_f32 v4, 0, v4
	v_fmamk_f32 v2, v2, 0xbf93cd3a, v6
	s_delay_alu instid0(VALU_DEP_1) | instskip(NEXT) | instid1(VALU_DEP_1)
	v_dual_sub_f32 v4, v4, v5 :: v_dual_fmac_f32 v2, 2.0, v3
	v_dual_add_f32 v3, 0x43800000, v4 :: v_dual_add_f32 v2, 0x43800000, v2
	s_delay_alu instid0(VALU_DEP_1) | instskip(NEXT) | instid1(VALU_DEP_2)
	v_floor_f32_e32 v4, v3
	v_floor_f32_e32 v5, v2
	s_delay_alu instid0(VALU_DEP_2) | instskip(NEXT) | instid1(VALU_DEP_2)
	v_cvt_i32_f32_e32 v4, v4
	v_cvt_i32_f32_e32 v5, v5
	s_delay_alu instid0(VALU_DEP_2)
	v_cmp_gt_i32_e64 s7, 0, v4
	v_cmpx_lt_i32_e32 -1, v4
; %bb.1:
	s_delay_alu instid0(VALU_DEP_3) | instskip(NEXT) | instid1(VALU_DEP_3)
	v_max_u32_e32 v6, v4, v5
	s_and_not1_b32 s3, s7, exec_lo
	s_mov_b32 s6, exec_lo
	s_delay_alu instid0(VALU_DEP_1) | instskip(SKIP_1) | instid1(SALU_CYCLE_1)
	v_cmp_lt_u32_e32 vcc_lo, 0x1fe, v6
	s_and_b32 s7, vcc_lo, exec_lo
	s_or_b32 s7, s3, s7
; %bb.2:
	s_or_b32 exec_lo, exec_lo, s2
	s_load_b64 s[2:3], s[0:1], 0x8
                                        ; implicit-def: $vgpr6
	s_wait_xcnt 0x0
	s_and_saveexec_b32 s0, s7
	s_delay_alu instid0(SALU_CYCLE_1)
	s_xor_b32 s1, exec_lo, s0
	s_cbranch_execnz .LBB0_5
; %bb.3:
	s_or_b32 exec_lo, exec_lo, s1
	s_and_saveexec_b32 s0, s6
	s_cbranch_execnz .LBB0_10
.LBB0_4:
	s_or_b32 exec_lo, exec_lo, s0
	v_lshl_add_u32 v0, v0, 9, v1
	s_wait_loadcnt 0x0
	s_wait_kmcnt 0x0
	global_store_b16 v0, v6, s[2:3] scale_offset
	s_endpgm
.LBB0_5:
	v_cmp_eq_u32_e32 vcc_lo, 0x1ff, v4
	v_cmp_gt_u32_e64 s0, 0x200, v5
	s_and_b32 s7, vcc_lo, s0
	s_delay_alu instid0(SALU_CYCLE_1) | instskip(NEXT) | instid1(SALU_CYCLE_1)
	s_xor_b32 s0, s7, -1
	s_and_saveexec_b32 s8, s0
; %bb.6:
	v_cmp_eq_u32_e32 vcc_lo, 0x1ff, v5
	v_cmp_gt_u32_e64 s0, 0x200, v4
	s_and_not1_b32 s7, s7, exec_lo
	s_and_b32 s0, vcc_lo, s0
	s_delay_alu instid0(SALU_CYCLE_1) | instskip(NEXT) | instid1(SALU_CYCLE_1)
	s_and_b32 s0, s0, exec_lo
	s_or_b32 s7, s7, s0
; %bb.7:
	s_or_b32 exec_lo, exec_lo, s8
	v_mov_b32_e32 v6, 1
	s_and_saveexec_b32 s0, s7
	s_cbranch_execz .LBB0_9
; %bb.8:
	v_lshl_add_u32 v6, v5, 9, v4
	s_wait_kmcnt 0x0
	global_load_u16 v6, v6, s[4:5] scale_offset
.LBB0_9:
	s_wait_xcnt 0x0
	s_or_b32 exec_lo, exec_lo, s0
	s_delay_alu instid0(SALU_CYCLE_1)
	s_and_not1_b32 s6, s6, exec_lo
	s_or_b32 exec_lo, exec_lo, s1
	s_and_saveexec_b32 s0, s6
	s_cbranch_execz .LBB0_4
.LBB0_10:
	v_dual_mov_b32 v7, 0 :: v_dual_lshlrev_b32 v10, 9, v5
	v_cvt_f32_i32_e32 v5, v5
	s_wait_loadcnt 0x0
	s_delay_alu instid0(VALU_DEP_2) | instskip(SKIP_1) | instid1(VALU_DEP_1)
	v_or_b32_e32 v6, v10, v4
	s_wait_kmcnt 0x0
	v_lshl_add_u64 v[8:9], v[6:7], 1, s[4:5]
	v_add_nc_u32_e32 v6, v10, v4
	v_cvt_f32_i32_e32 v4, v4
	s_delay_alu instid0(VALU_DEP_1) | instskip(NEXT) | instid1(VALU_DEP_3)
	v_sub_f32_e32 v4, v3, v4
	v_lshl_add_u64 v[6:7], v[6:7], 1, s[4:5]
	s_clause 0x1
	global_load_b32 v10, v[6:7], off offset:1024
	global_load_b32 v11, v[8:9], off
	v_sub_f32_e32 v3, v2, v5
	s_wait_loadcnt 0x1
	s_wait_xcnt 0x1
	s_delay_alu instid0(VALU_DEP_1)
	v_dual_sub_f32 v2, 1.0, v3 :: v_dual_lshrrev_b32 v6, 16, v10
	s_wait_loadcnt 0x0
	v_lshrrev_b32_e32 v8, 16, v11
	v_and_b32_e32 v9, 0xffff, v11
	v_and_b32_e32 v10, 0xffff, v10
	v_cvt_f32_u32_e32 v7, v6
	s_delay_alu instid0(VALU_DEP_4) | instskip(SKIP_1) | instid1(VALU_DEP_4)
	v_cvt_f32_u32_e32 v6, v8
	v_sub_f32_e32 v8, 1.0, v4
	v_cvt_f32_u32_e32 v11, v10
	v_cvt_f32_u32_e32 v10, v9
	s_delay_alu instid0(VALU_DEP_4) | instskip(NEXT) | instid1(VALU_DEP_1)
	v_pk_mul_f32 v[4:5], v[4:5], v[6:7] op_sel_hi:[0,1]
	v_pk_fma_f32 v[4:5], v[8:9], v[10:11], v[4:5] op_sel_hi:[0,1,1]
	s_delay_alu instid0(VALU_DEP_1) | instskip(NEXT) | instid1(VALU_DEP_1)
	v_pk_mul_f32 v[2:3], v[2:3], v[4:5]
	v_add_f32_e32 v2, v2, v3
	s_delay_alu instid0(VALU_DEP_1)
	v_cvt_u32_f32_e32 v6, v2
	s_or_b32 exec_lo, exec_lo, s0
	v_lshl_add_u32 v0, v0, 9, v1
	global_store_b16 v0, v6, s[2:3] scale_offset
	s_endpgm
	.section	.rodata,"a",@progbits
	.p2align	6, 0x0
	.amdhsa_kernel _Z6affinePKtPt
		.amdhsa_group_segment_fixed_size 0
		.amdhsa_private_segment_fixed_size 0
		.amdhsa_kernarg_size 272
		.amdhsa_user_sgpr_count 2
		.amdhsa_user_sgpr_dispatch_ptr 0
		.amdhsa_user_sgpr_queue_ptr 0
		.amdhsa_user_sgpr_kernarg_segment_ptr 1
		.amdhsa_user_sgpr_dispatch_id 0
		.amdhsa_user_sgpr_kernarg_preload_length 0
		.amdhsa_user_sgpr_kernarg_preload_offset 0
		.amdhsa_user_sgpr_private_segment_size 0
		.amdhsa_wavefront_size32 1
		.amdhsa_uses_dynamic_stack 0
		.amdhsa_enable_private_segment 0
		.amdhsa_system_sgpr_workgroup_id_x 1
		.amdhsa_system_sgpr_workgroup_id_y 1
		.amdhsa_system_sgpr_workgroup_id_z 0
		.amdhsa_system_sgpr_workgroup_info 0
		.amdhsa_system_vgpr_workitem_id 1
		.amdhsa_next_free_vgpr 12
		.amdhsa_next_free_sgpr 9
		.amdhsa_named_barrier_count 0
		.amdhsa_reserve_vcc 1
		.amdhsa_float_round_mode_32 0
		.amdhsa_float_round_mode_16_64 0
		.amdhsa_float_denorm_mode_32 3
		.amdhsa_float_denorm_mode_16_64 3
		.amdhsa_fp16_overflow 0
		.amdhsa_memory_ordered 1
		.amdhsa_forward_progress 1
		.amdhsa_inst_pref_size 7
		.amdhsa_round_robin_scheduling 0
		.amdhsa_exception_fp_ieee_invalid_op 0
		.amdhsa_exception_fp_denorm_src 0
		.amdhsa_exception_fp_ieee_div_zero 0
		.amdhsa_exception_fp_ieee_overflow 0
		.amdhsa_exception_fp_ieee_underflow 0
		.amdhsa_exception_fp_ieee_inexact 0
		.amdhsa_exception_int_div_zero 0
	.end_amdhsa_kernel
	.text
.Lfunc_end0:
	.size	_Z6affinePKtPt, .Lfunc_end0-_Z6affinePKtPt
                                        ; -- End function
	.set _Z6affinePKtPt.num_vgpr, 12
	.set _Z6affinePKtPt.num_agpr, 0
	.set _Z6affinePKtPt.numbered_sgpr, 9
	.set _Z6affinePKtPt.num_named_barrier, 0
	.set _Z6affinePKtPt.private_seg_size, 0
	.set _Z6affinePKtPt.uses_vcc, 1
	.set _Z6affinePKtPt.uses_flat_scratch, 0
	.set _Z6affinePKtPt.has_dyn_sized_stack, 0
	.set _Z6affinePKtPt.has_recursion, 0
	.set _Z6affinePKtPt.has_indirect_call, 0
	.section	.AMDGPU.csdata,"",@progbits
; Kernel info:
; codeLenInByte = 772
; TotalNumSgprs: 11
; NumVgprs: 12
; ScratchSize: 0
; MemoryBound: 0
; FloatMode: 240
; IeeeMode: 1
; LDSByteSize: 0 bytes/workgroup (compile time only)
; SGPRBlocks: 0
; VGPRBlocks: 0
; NumSGPRsForWavesPerEU: 11
; NumVGPRsForWavesPerEU: 12
; NamedBarCnt: 0
; Occupancy: 16
; WaveLimiterHint : 0
; COMPUTE_PGM_RSRC2:SCRATCH_EN: 0
; COMPUTE_PGM_RSRC2:USER_SGPR: 2
; COMPUTE_PGM_RSRC2:TRAP_HANDLER: 0
; COMPUTE_PGM_RSRC2:TGID_X_EN: 1
; COMPUTE_PGM_RSRC2:TGID_Y_EN: 1
; COMPUTE_PGM_RSRC2:TGID_Z_EN: 0
; COMPUTE_PGM_RSRC2:TIDIG_COMP_CNT: 1
	.text
	.p2alignl 7, 3214868480
	.fill 96, 4, 3214868480
	.section	.AMDGPU.gpr_maximums,"",@progbits
	.set amdgpu.max_num_vgpr, 0
	.set amdgpu.max_num_agpr, 0
	.set amdgpu.max_num_sgpr, 0
	.text
	.type	__hip_cuid_6451550b369fe781,@object ; @__hip_cuid_6451550b369fe781
	.section	.bss,"aw",@nobits
	.globl	__hip_cuid_6451550b369fe781
__hip_cuid_6451550b369fe781:
	.byte	0                               ; 0x0
	.size	__hip_cuid_6451550b369fe781, 1

	.ident	"AMD clang version 22.0.0git (https://github.com/RadeonOpenCompute/llvm-project roc-7.2.4 26084 f58b06dce1f9c15707c5f808fd002e18c2accf7e)"
	.section	".note.GNU-stack","",@progbits
	.addrsig
	.addrsig_sym __hip_cuid_6451550b369fe781
	.amdgpu_metadata
---
amdhsa.kernels:
  - .args:
      - .actual_access:  read_only
        .address_space:  global
        .offset:         0
        .size:           8
        .value_kind:     global_buffer
      - .actual_access:  write_only
        .address_space:  global
        .offset:         8
        .size:           8
        .value_kind:     global_buffer
      - .offset:         16
        .size:           4
        .value_kind:     hidden_block_count_x
      - .offset:         20
        .size:           4
        .value_kind:     hidden_block_count_y
      - .offset:         24
        .size:           4
        .value_kind:     hidden_block_count_z
      - .offset:         28
        .size:           2
        .value_kind:     hidden_group_size_x
      - .offset:         30
        .size:           2
        .value_kind:     hidden_group_size_y
      - .offset:         32
        .size:           2
        .value_kind:     hidden_group_size_z
      - .offset:         34
        .size:           2
        .value_kind:     hidden_remainder_x
      - .offset:         36
        .size:           2
        .value_kind:     hidden_remainder_y
      - .offset:         38
        .size:           2
        .value_kind:     hidden_remainder_z
      - .offset:         56
        .size:           8
        .value_kind:     hidden_global_offset_x
      - .offset:         64
        .size:           8
        .value_kind:     hidden_global_offset_y
      - .offset:         72
        .size:           8
        .value_kind:     hidden_global_offset_z
      - .offset:         80
        .size:           2
        .value_kind:     hidden_grid_dims
    .group_segment_fixed_size: 0
    .kernarg_segment_align: 8
    .kernarg_segment_size: 272
    .language:       OpenCL C
    .language_version:
      - 2
      - 0
    .max_flat_workgroup_size: 1024
    .name:           _Z6affinePKtPt
    .private_segment_fixed_size: 0
    .sgpr_count:     11
    .sgpr_spill_count: 0
    .symbol:         _Z6affinePKtPt.kd
    .uniform_work_group_size: 1
    .uses_dynamic_stack: false
    .vgpr_count:     12
    .vgpr_spill_count: 0
    .wavefront_size: 32
amdhsa.target:   amdgcn-amd-amdhsa--gfx1250
amdhsa.version:
  - 1
  - 2
...

	.end_amdgpu_metadata
